;; amdgpu-corpus repo=ROCm/rocFFT kind=compiled arch=gfx1030 opt=O3
	.text
	.amdgcn_target "amdgcn-amd-amdhsa--gfx1030"
	.amdhsa_code_object_version 6
	.protected	bluestein_single_fwd_len960_dim1_sp_op_CI_CI ; -- Begin function bluestein_single_fwd_len960_dim1_sp_op_CI_CI
	.globl	bluestein_single_fwd_len960_dim1_sp_op_CI_CI
	.p2align	8
	.type	bluestein_single_fwd_len960_dim1_sp_op_CI_CI,@function
bluestein_single_fwd_len960_dim1_sp_op_CI_CI: ; @bluestein_single_fwd_len960_dim1_sp_op_CI_CI
; %bb.0:
	s_load_dwordx4 s[0:3], s[4:5], 0x28
	v_mul_u32_u24_e32 v1, 0x19a, v0
	v_mov_b32_e32 v57, 0
	v_lshrrev_b32_e32 v1, 16, v1
	v_add_nc_u32_e32 v56, s6, v1
	s_waitcnt lgkmcnt(0)
	v_cmp_gt_u64_e32 vcc_lo, s[0:1], v[56:57]
	s_and_saveexec_b32 s0, vcc_lo
	s_cbranch_execz .LBB0_23
; %bb.1:
	s_clause 0x1
	s_load_dwordx2 s[14:15], s[4:5], 0x0
	s_load_dwordx2 s[12:13], s[4:5], 0x38
	v_mul_lo_u16 v1, 0xa0, v1
	v_sub_nc_u16 v0, v0, v1
	v_and_b32_e32 v62, 0xffff, v0
	v_cmp_gt_u16_e32 vcc_lo, 60, v0
	v_lshlrev_b32_e32 v61, 3, v62
	s_and_saveexec_b32 s1, vcc_lo
	s_cbranch_execz .LBB0_3
; %bb.2:
	s_load_dwordx2 s[6:7], s[4:5], 0x18
	s_waitcnt lgkmcnt(0)
	v_add_co_u32 v20, s0, s14, v61
	v_add_co_ci_u32_e64 v21, null, s15, 0, s0
	v_add_nc_u32_e32 v69, 0x400, v61
	v_add_nc_u32_e32 v70, 0x800, v61
	;; [unrolled: 1-line block ×5, first 2 shown]
	s_load_dwordx4 s[8:11], s[6:7], 0x0
	s_clause 0x4
	global_load_dwordx2 v[4:5], v61, s[14:15]
	global_load_dwordx2 v[6:7], v61, s[14:15] offset:480
	global_load_dwordx2 v[8:9], v61, s[14:15] offset:960
	;; [unrolled: 1-line block ×4, first 2 shown]
	s_waitcnt lgkmcnt(0)
	v_mad_u64_u32 v[0:1], null, s10, v56, 0
	v_mad_u64_u32 v[2:3], null, s8, v62, 0
	s_mul_i32 s6, s9, 0x1e0
	s_mul_hi_u32 s7, s8, 0x1e0
	s_add_i32 s7, s7, s6
	v_mad_u64_u32 v[14:15], null, s11, v56, v[1:2]
	v_add_co_u32 v15, s0, 0x800, v20
	v_add_co_ci_u32_e64 v16, s0, 0, v21, s0
	v_mov_b32_e32 v1, v14
	s_clause 0x3
	global_load_dwordx2 v[22:23], v[15:16], off offset:352
	global_load_dwordx2 v[24:25], v[15:16], off offset:832
	;; [unrolled: 1-line block ×4, first 2 shown]
	v_lshlrev_b64 v[0:1], 3, v[0:1]
	s_waitcnt vmcnt(8)
	v_mad_u64_u32 v[17:18], null, s9, v62, v[3:4]
	v_add_co_u32 v18, s0, 0x1000, v20
	v_add_co_ci_u32_e64 v19, s0, 0, v21, s0
	v_add_co_u32 v20, s0, 0x1800, v20
	v_mov_b32_e32 v3, v17
	v_add_co_ci_u32_e64 v21, s0, 0, v21, s0
	v_add_co_u32 v0, s0, s2, v0
	v_lshlrev_b64 v[2:3], 3, v[2:3]
	v_add_co_ci_u32_e64 v1, s0, s3, v1, s0
	s_mul_i32 s2, s8, 0x1e0
	s_clause 0x4
	global_load_dwordx2 v[16:17], v[18:19], off offset:224
	global_load_dwordx2 v[28:29], v[18:19], off offset:704
	;; [unrolled: 1-line block ×5, first 2 shown]
	v_add_co_u32 v0, s0, v0, v2
	v_add_co_ci_u32_e64 v1, s0, v1, v3, s0
	v_add_co_u32 v2, s0, v0, s2
	v_add_co_ci_u32_e64 v3, s0, s7, v1, s0
	global_load_dwordx2 v[0:1], v[0:1], off
	v_add_co_u32 v32, s0, v2, s2
	v_add_co_ci_u32_e64 v33, s0, s7, v3, s0
	v_add_co_u32 v36, s0, v32, s2
	v_add_co_ci_u32_e64 v37, s0, s7, v33, s0
	;; [unrolled: 2-line block ×3, first 2 shown]
	s_clause 0x2
	global_load_dwordx2 v[2:3], v[2:3], off
	global_load_dwordx2 v[32:33], v[32:33], off
	global_load_dwordx2 v[36:37], v[36:37], off
	v_add_co_u32 v40, s0, v38, s2
	v_add_co_ci_u32_e64 v41, s0, s7, v39, s0
	global_load_dwordx2 v[38:39], v[38:39], off
	v_add_co_u32 v42, s0, v40, s2
	v_add_co_ci_u32_e64 v43, s0, s7, v41, s0
	global_load_dwordx2 v[40:41], v[40:41], off
	v_add_co_u32 v44, s0, v42, s2
	v_add_co_ci_u32_e64 v45, s0, s7, v43, s0
	global_load_dwordx2 v[42:43], v[42:43], off
	v_add_co_u32 v46, s0, v44, s2
	v_add_co_ci_u32_e64 v47, s0, s7, v45, s0
	global_load_dwordx2 v[44:45], v[44:45], off
	v_add_co_u32 v48, s0, v46, s2
	v_add_co_ci_u32_e64 v49, s0, s7, v47, s0
	global_load_dwordx2 v[46:47], v[46:47], off
	v_add_co_u32 v50, s0, v48, s2
	v_add_co_ci_u32_e64 v51, s0, s7, v49, s0
	global_load_dwordx2 v[48:49], v[48:49], off
	v_add_co_u32 v52, s0, v50, s2
	v_add_co_ci_u32_e64 v53, s0, s7, v51, s0
	global_load_dwordx2 v[50:51], v[50:51], off
	v_add_co_u32 v54, s0, v52, s2
	v_add_co_ci_u32_e64 v55, s0, s7, v53, s0
	global_load_dwordx2 v[52:53], v[52:53], off
	v_add_co_u32 v57, s0, v54, s2
	v_add_co_ci_u32_e64 v58, s0, s7, v55, s0
	global_load_dwordx2 v[54:55], v[54:55], off
	v_add_co_u32 v59, s0, v57, s2
	v_add_co_ci_u32_e64 v60, s0, s7, v58, s0
	global_load_dwordx2 v[57:58], v[57:58], off
	v_add_co_u32 v63, s0, v59, s2
	v_add_co_ci_u32_e64 v64, s0, s7, v60, s0
	global_load_dwordx2 v[59:60], v[59:60], off
	s_clause 0x1
	global_load_dwordx2 v[65:66], v[20:21], off offset:576
	global_load_dwordx2 v[20:21], v[20:21], off offset:1056
	global_load_dwordx2 v[63:64], v[63:64], off
	s_waitcnt vmcnt(17)
	v_mul_f32_e32 v67, v1, v5
	v_mul_f32_e32 v5, v0, v5
	v_fmac_f32_e32 v67, v0, v4
	v_fma_f32 v68, v1, v4, -v5
	s_waitcnt vmcnt(16)
	v_mul_f32_e32 v74, v2, v7
	v_mul_f32_e32 v0, v3, v7
	s_waitcnt vmcnt(15)
	v_mul_f32_e32 v5, v32, v9
	v_mul_f32_e32 v4, v33, v9
	v_fma_f32 v1, v3, v6, -v74
	s_waitcnt vmcnt(14)
	v_mul_f32_e32 v3, v36, v11
	v_fmac_f32_e32 v0, v2, v6
	v_fma_f32 v5, v33, v8, -v5
	v_fmac_f32_e32 v4, v32, v8
	v_mul_f32_e32 v2, v37, v11
	s_waitcnt vmcnt(13)
	v_mul_f32_e32 v7, v38, v13
	v_mul_f32_e32 v6, v39, v13
	s_waitcnt vmcnt(12)
	v_mul_f32_e32 v9, v40, v23
	v_mul_f32_e32 v8, v41, v23
	v_fma_f32 v3, v37, v10, -v3
	v_fmac_f32_e32 v2, v36, v10
	v_fma_f32 v7, v39, v12, -v7
	v_fmac_f32_e32 v6, v38, v12
	;; [unrolled: 2-line block ×3, first 2 shown]
	ds_write2_b64 v61, v[67:68], v[0:1] offset1:60
	ds_write2_b64 v61, v[4:5], v[2:3] offset0:120 offset1:180
	s_waitcnt vmcnt(11)
	v_mul_f32_e32 v0, v43, v25
	v_mul_f32_e32 v1, v42, v25
	s_waitcnt vmcnt(10)
	v_mul_f32_e32 v2, v45, v27
	ds_write2_b64 v69, v[6:7], v[8:9] offset0:112 offset1:172
	v_mul_f32_e32 v3, v44, v27
	s_waitcnt vmcnt(9)
	v_mul_f32_e32 v4, v47, v15
	v_mul_f32_e32 v5, v46, v15
	v_fmac_f32_e32 v0, v42, v24
	v_fma_f32 v1, v43, v24, -v1
	v_fmac_f32_e32 v2, v44, v26
	s_waitcnt vmcnt(8)
	v_mul_f32_e32 v6, v49, v17
	v_mul_f32_e32 v7, v48, v17
	v_fmac_f32_e32 v4, v46, v14
	v_fma_f32 v5, v47, v14, -v5
	v_fma_f32 v3, v45, v26, -v3
	s_waitcnt vmcnt(7)
	v_mul_f32_e32 v8, v51, v29
	v_mul_f32_e32 v9, v50, v29
	v_fmac_f32_e32 v6, v48, v16
	v_fma_f32 v7, v49, v16, -v7
	s_waitcnt vmcnt(6)
	v_mul_f32_e32 v10, v53, v31
	v_mul_f32_e32 v11, v52, v31
	v_fmac_f32_e32 v8, v50, v28
	v_fma_f32 v9, v51, v28, -v9
	s_waitcnt vmcnt(5)
	v_mul_f32_e32 v12, v55, v19
	v_mul_f32_e32 v13, v54, v19
	v_fmac_f32_e32 v10, v52, v30
	v_fma_f32 v11, v53, v30, -v11
	s_waitcnt vmcnt(4)
	v_mul_f32_e32 v14, v58, v35
	v_mul_f32_e32 v15, v57, v35
	v_fmac_f32_e32 v12, v54, v18
	v_fma_f32 v13, v55, v18, -v13
	s_waitcnt vmcnt(2)
	v_mul_f32_e32 v16, v60, v66
	v_mul_f32_e32 v17, v59, v66
	s_waitcnt vmcnt(0)
	v_mul_f32_e32 v18, v64, v21
	v_mul_f32_e32 v19, v63, v21
	v_fmac_f32_e32 v14, v57, v34
	v_fma_f32 v15, v58, v34, -v15
	v_fmac_f32_e32 v16, v59, v65
	v_fma_f32 v17, v60, v65, -v17
	;; [unrolled: 2-line block ×3, first 2 shown]
	v_add_nc_u32_e32 v20, 0x1800, v61
	ds_write2_b64 v70, v[0:1], v[2:3] offset0:104 offset1:164
	ds_write2_b64 v71, v[4:5], v[6:7] offset0:96 offset1:156
	;; [unrolled: 1-line block ×5, first 2 shown]
.LBB0_3:
	s_or_b32 exec_lo, exec_lo, s1
	s_waitcnt lgkmcnt(0)
	s_barrier
	buffer_gl0_inv
                                        ; implicit-def: $vgpr14
                                        ; implicit-def: $vgpr26
                                        ; implicit-def: $vgpr22
                                        ; implicit-def: $vgpr30
                                        ; implicit-def: $vgpr18
                                        ; implicit-def: $vgpr10
                                        ; implicit-def: $vgpr2
                                        ; implicit-def: $vgpr6
	s_and_saveexec_b32 s0, vcc_lo
	s_cbranch_execz .LBB0_5
; %bb.4:
	v_add_nc_u32_e32 v8, 0x400, v61
	v_add_nc_u32_e32 v12, 0x800, v61
	;; [unrolled: 1-line block ×6, first 2 shown]
	ds_read2_b64 v[4:7], v61 offset1:60
	ds_read2_b64 v[0:3], v61 offset0:120 offset1:180
	ds_read2_b64 v[8:11], v8 offset0:112 offset1:172
	;; [unrolled: 1-line block ×7, first 2 shown]
.LBB0_5:
	s_or_b32 exec_lo, exec_lo, s0
	s_waitcnt lgkmcnt(3)
	v_sub_f32_e32 v28, v4, v28
	s_waitcnt lgkmcnt(1)
	v_sub_f32_e32 v25, v9, v25
	v_sub_f32_e32 v20, v0, v20
	s_waitcnt lgkmcnt(0)
	v_sub_f32_e32 v13, v17, v13
	v_sub_f32_e32 v29, v5, v29
	;; [unrolled: 1-line block ×4, first 2 shown]
	v_fma_f32 v9, v9, 2.0, -v25
	v_sub_f32_e32 v12, v16, v12
	v_sub_f32_e32 v31, v7, v31
	v_fma_f32 v17, v17, 2.0, -v13
	v_sub_f32_e32 v27, v11, v27
	v_sub_f32_e32 v23, v3, v23
	;; [unrolled: 1-line block ×5, first 2 shown]
	v_fma_f32 v4, v4, 2.0, -v28
	v_fma_f32 v5, v5, 2.0, -v29
	;; [unrolled: 1-line block ×5, first 2 shown]
	v_sub_f32_e32 v30, v6, v30
	v_fma_f32 v16, v16, 2.0, -v12
	v_sub_f32_e32 v26, v10, v26
	v_fma_f32 v7, v7, 2.0, -v31
	v_sub_f32_e32 v22, v2, v22
	v_sub_f32_e32 v14, v18, v14
	v_fma_f32 v11, v11, 2.0, -v27
	v_fma_f32 v3, v3, 2.0, -v23
	;; [unrolled: 1-line block ×3, first 2 shown]
	v_add_f32_e32 v24, v24, v29
	v_fma_f32 v28, v28, 2.0, -v25
	v_add_f32_e32 v12, v12, v21
	v_fma_f32 v20, v20, 2.0, -v13
	v_fma_f32 v6, v6, 2.0, -v30
	v_fma_f32 v10, v10, 2.0, -v26
	v_fma_f32 v2, v2, 2.0, -v22
	v_fma_f32 v18, v18, 2.0, -v14
	v_sub_f32_e32 v9, v5, v9
	v_fma_f32 v29, v29, 2.0, -v24
	v_sub_f32_e32 v17, v1, v17
	v_sub_f32_e32 v11, v7, v11
	v_fma_f32 v21, v21, 2.0, -v12
	v_add_f32_e32 v26, v26, v31
	v_sub_f32_e32 v19, v3, v19
	v_add_f32_e32 v14, v14, v23
	v_fmamk_f32 v42, v20, 0xbf3504f3, v28
	v_sub_f32_e32 v8, v4, v8
	v_fma_f32 v5, v5, 2.0, -v9
	v_sub_f32_e32 v16, v0, v16
	v_sub_f32_e32 v10, v6, v10
	v_fma_f32 v1, v1, 2.0, -v17
	v_sub_f32_e32 v27, v30, v27
	v_fma_f32 v7, v7, 2.0, -v11
	;; [unrolled: 2-line block ×4, first 2 shown]
	v_fmamk_f32 v43, v21, 0xbf3504f3, v29
	v_fmac_f32_e32 v42, 0xbf3504f3, v21
	v_fma_f32 v21, v23, 2.0, -v14
	v_fma_f32 v4, v4, 2.0, -v8
	;; [unrolled: 1-line block ×7, first 2 shown]
	v_sub_f32_e32 v1, v5, v1
	v_fmamk_f32 v46, v13, 0x3f3504f3, v25
	v_fmamk_f32 v47, v12, 0x3f3504f3, v24
	v_sub_f32_e32 v3, v7, v3
	v_fmamk_f32 v32, v21, 0xbf3504f3, v31
	v_fmamk_f32 v51, v14, 0x3f3504f3, v26
	v_sub_f32_e32 v0, v4, v0
	v_fma_f32 v5, v5, 2.0, -v1
	v_fmac_f32_e32 v43, 0x3f3504f3, v20
	v_fmac_f32_e32 v46, 0xbf3504f3, v12
	;; [unrolled: 1-line block ×3, first 2 shown]
	v_fmamk_f32 v12, v22, 0xbf3504f3, v30
	v_sub_f32_e32 v2, v6, v2
	v_fma_f32 v7, v7, 2.0, -v3
	v_fmac_f32_e32 v32, 0x3f3504f3, v22
	v_fmamk_f32 v48, v15, 0x3f3504f3, v27
	v_fmac_f32_e32 v51, 0x3f3504f3, v15
	v_fma_f32 v4, v4, 2.0, -v0
	v_fma_f32 v29, v29, 2.0, -v43
	v_fmac_f32_e32 v12, 0xbf3504f3, v21
	v_fma_f32 v33, v24, 2.0, -v47
	v_fma_f32 v6, v6, 2.0, -v2
	v_add_f32_e32 v50, v18, v11
	v_fma_f32 v18, v31, 2.0, -v32
	v_fmac_f32_e32 v48, 0xbf3504f3, v14
	v_sub_f32_e32 v21, v5, v7
	v_fma_f32 v7, v26, 2.0, -v51
	v_fma_f32 v28, v28, 2.0, -v42
	v_sub_f32_e32 v44, v8, v17
	v_add_f32_e32 v45, v16, v9
	v_fma_f32 v30, v30, 2.0, -v12
	v_sub_f32_e32 v49, v10, v19
	v_sub_f32_e32 v20, v4, v6
	v_fma_f32 v6, v27, 2.0, -v48
	v_fmamk_f32 v23, v18, 0xbf6c835e, v29
	v_fmamk_f32 v27, v7, 0xbec3ef15, v33
	v_fma_f32 v8, v8, 2.0, -v44
	v_fma_f32 v9, v9, 2.0, -v45
	;; [unrolled: 1-line block ×5, first 2 shown]
	v_fmamk_f32 v22, v30, 0xbf6c835e, v28
	v_fmac_f32_e32 v23, 0x3ec3ef15, v30
	v_fmac_f32_e32 v27, 0x3f6c835e, v6
	v_fmamk_f32 v30, v12, 0x3ec3ef15, v42
	v_fmamk_f32 v24, v10, 0xbf3504f3, v8
	v_fmac_f32_e32 v22, 0xbec3ef15, v18
	v_fmamk_f32 v25, v11, 0xbf3504f3, v9
	v_fmamk_f32 v26, v6, 0xbec3ef15, v13
	;; [unrolled: 1-line block ×3, first 2 shown]
	v_fma_f32 v39, v33, 2.0, -v27
	v_fmac_f32_e32 v30, 0xbf6c835e, v32
	v_fmamk_f32 v32, v49, 0x3f3504f3, v44
	v_fmamk_f32 v33, v50, 0x3f3504f3, v45
	;; [unrolled: 1-line block ×4, first 2 shown]
	v_fma_f32 v18, v28, 2.0, -v22
	v_fmac_f32_e32 v24, 0xbf3504f3, v11
	v_fmac_f32_e32 v25, 0x3f3504f3, v10
	;; [unrolled: 1-line block ×3, first 2 shown]
	v_fma_f32 v19, v29, 2.0, -v23
	v_sub_f32_e32 v28, v0, v3
	v_add_f32_e32 v29, v2, v1
	v_fmac_f32_e32 v31, 0x3f6c835e, v12
	v_fmac_f32_e32 v32, 0xbf3504f3, v50
	;; [unrolled: 1-line block ×5, first 2 shown]
	v_fma_f32 v16, v4, 2.0, -v20
	v_fma_f32 v17, v5, 2.0, -v21
	;; [unrolled: 1-line block ×13, first 2 shown]
	v_lshlrev_b16 v64, 4, v62
	s_barrier
	buffer_gl0_inv
	s_and_saveexec_b32 s0, vcc_lo
	s_cbranch_execz .LBB0_7
; %bb.6:
	v_mov_b32_e32 v0, 3
	v_lshlrev_b32_sdwa v0, v0, v64 dst_sel:DWORD dst_unused:UNUSED_PAD src0_sel:DWORD src1_sel:WORD_0
	ds_write_b128 v0, v[16:19]
	ds_write_b128 v0, v[36:39] offset:16
	ds_write_b128 v0, v[40:43] offset:32
	;; [unrolled: 1-line block ×7, first 2 shown]
.LBB0_7:
	s_or_b32 exec_lo, exec_lo, s0
	s_clause 0x1
	s_load_dwordx2 s[2:3], s[4:5], 0x20
	s_load_dwordx2 s[4:5], s[4:5], 0x8
	v_cmp_gt_u16_e64 s0, 0x60, v62
	s_waitcnt lgkmcnt(0)
	s_barrier
	buffer_gl0_inv
	s_and_saveexec_b32 s1, s0
	s_cbranch_execz .LBB0_9
; %bb.8:
	v_add_nc_u32_e32 v0, 0x400, v61
	v_add_nc_u32_e32 v1, 0x800, v61
	;; [unrolled: 1-line block ×4, first 2 shown]
	ds_read2_b64 v[16:19], v61 offset1:96
	ds_read2_b64 v[36:39], v0 offset0:64 offset1:160
	ds_read2_b64 v[40:43], v1 offset0:128 offset1:224
	;; [unrolled: 1-line block ×3, first 2 shown]
	ds_read2_b64 v[20:23], v3 offset1:96
.LBB0_9:
	s_or_b32 exec_lo, exec_lo, s1
	v_and_b32_e32 v63, 15, v62
	v_mad_u64_u32 v[48:49], null, 0x48, v63, s[4:5]
	s_clause 0x4
	global_load_dwordx4 v[4:7], v[48:49], off
	global_load_dwordx4 v[0:3], v[48:49], off offset:16
	global_load_dwordx4 v[12:15], v[48:49], off offset:32
	;; [unrolled: 1-line block ×3, first 2 shown]
	global_load_dwordx2 v[57:58], v[48:49], off offset:64
	s_waitcnt vmcnt(0) lgkmcnt(0)
	s_barrier
	buffer_gl0_inv
	v_mul_f32_e32 v59, v19, v5
	v_mul_f32_e32 v60, v37, v7
	v_mul_f32_e32 v55, v36, v7
	v_mul_f32_e32 v65, v39, v1
	v_mul_f32_e32 v54, v38, v1
	v_mul_f32_e32 v66, v41, v3
	v_mul_f32_e32 v48, v40, v3
	v_mul_f32_e32 v69, v43, v13
	v_mul_f32_e32 v51, v42, v13
	v_mul_f32_e32 v70, v45, v15
	v_mul_f32_e32 v49, v44, v15
	v_mul_f32_e32 v71, v47, v9
	v_mul_f32_e32 v52, v46, v9
	v_mul_f32_e32 v72, v21, v11
	v_mul_f32_e32 v50, v20, v11
	v_mul_f32_e32 v73, v23, v58
	v_mul_f32_e32 v53, v22, v58
	v_mul_f32_e32 v68, v18, v5
	v_fma_f32 v18, v18, v4, -v59
	v_fma_f32 v67, v36, v6, -v60
	v_fmac_f32_e32 v55, v37, v6
	v_fma_f32 v60, v38, v0, -v65
	v_fmac_f32_e32 v54, v39, v0
	;; [unrolled: 2-line block ×6, first 2 shown]
	v_fmac_f32_e32 v50, v21, v10
	v_fma_f32 v20, v20, v10, -v72
	v_fma_f32 v21, v22, v57, -v73
	v_fmac_f32_e32 v53, v23, v57
	v_fmac_f32_e32 v68, v19, v4
	v_sub_f32_e32 v22, v67, v59
	v_sub_f32_e32 v23, v20, v44
	v_add_f32_e32 v38, v67, v20
	v_add_f32_e32 v41, v48, v49
	;; [unrolled: 1-line block ×3, first 2 shown]
	v_sub_f32_e32 v69, v48, v55
	v_sub_f32_e32 v70, v49, v50
	v_add_f32_e32 v71, v66, v45
	v_sub_f32_e32 v76, v54, v51
	v_sub_f32_e32 v77, v53, v52
	;; [unrolled: 1-line block ×4, first 2 shown]
	v_add_f32_e32 v81, v60, v21
	v_add_f32_e32 v83, v51, v52
	;; [unrolled: 1-line block ×3, first 2 shown]
	v_sub_f32_e32 v80, v54, v53
	v_sub_f32_e32 v82, v51, v52
	;; [unrolled: 1-line block ×4, first 2 shown]
	v_add_f32_e32 v87, v22, v23
	v_add_f32_e32 v88, v69, v70
	v_fma_f32 v22, -0.5, v38, v16
	v_fma_f32 v69, -0.5, v41, v17
	;; [unrolled: 1-line block ×3, first 2 shown]
	v_add_f32_e32 v38, v76, v77
	v_add_f32_e32 v41, v78, v79
	v_fma_f32 v65, -0.5, v71, v18
	v_fma_f32 v78, -0.5, v81, v18
	;; [unrolled: 1-line block ×4, first 2 shown]
	v_add_f32_e32 v19, v59, v44
	v_sub_f32_e32 v37, v48, v49
	v_sub_f32_e32 v72, v60, v66
	;; [unrolled: 1-line block ×5, first 2 shown]
	v_fmamk_f32 v79, v80, 0x3f737871, v65
	v_fmac_f32_e32 v65, 0xbf737871, v80
	v_fmamk_f32 v81, v82, 0xbf737871, v78
	v_fmac_f32_e32 v78, 0x3f737871, v82
	;; [unrolled: 2-line block ×4, first 2 shown]
	v_sub_f32_e32 v36, v55, v50
	v_sub_f32_e32 v39, v59, v67
	v_sub_f32_e32 v40, v44, v20
	v_sub_f32_e32 v42, v67, v20
	v_sub_f32_e32 v43, v59, v44
	v_sub_f32_e32 v46, v55, v48
	v_sub_f32_e32 v47, v50, v49
	v_add_f32_e32 v72, v72, v73
	v_add_f32_e32 v73, v74, v75
	v_fma_f32 v19, -0.5, v19, v16
	v_fmamk_f32 v23, v37, 0xbf737871, v22
	v_fmac_f32_e32 v22, 0x3f737871, v37
	v_fmac_f32_e32 v79, 0x3f167918, v82
	;; [unrolled: 1-line block ×9, first 2 shown]
	v_add_f32_e32 v39, v39, v40
	v_add_f32_e32 v40, v46, v47
	v_fmamk_f32 v46, v36, 0x3f737871, v19
	v_fmac_f32_e32 v19, 0xbf737871, v36
	v_fmamk_f32 v47, v42, 0xbf737871, v69
	v_fmac_f32_e32 v69, 0x3f737871, v42
	;; [unrolled: 2-line block ×3, first 2 shown]
	v_fmac_f32_e32 v23, 0x3f167918, v36
	v_fmac_f32_e32 v22, 0xbf167918, v36
	;; [unrolled: 1-line block ×18, first 2 shown]
	v_mul_f32_e32 v72, 0x3f167918, v83
	v_mul_f32_e32 v73, 0x3f737871, v84
	;; [unrolled: 1-line block ×8, first 2 shown]
	v_fmac_f32_e32 v46, 0x3e9e377a, v87
	v_fmac_f32_e32 v19, 0x3e9e377a, v87
	;; [unrolled: 1-line block ×10, first 2 shown]
	v_fma_f32 v77, 0x3f737871, v77, -v36
	v_fma_f32 v76, 0x3f167918, v76, -v37
	;; [unrolled: 1-line block ×4, first 2 shown]
	v_sub_f32_e32 v36, v46, v72
	v_sub_f32_e32 v38, v23, v73
	;; [unrolled: 1-line block ×8, first 2 shown]
	v_lshrrev_b32_e32 v65, 4, v62
	s_and_saveexec_b32 s1, s0
	s_cbranch_execz .LBB0_11
; %bb.10:
	v_add_f32_e32 v16, v16, v67
	v_add_f32_e32 v17, v17, v55
	;; [unrolled: 1-line block ×13, first 2 shown]
	v_mul_u32_u24_e32 v20, 0xa0, v65
	v_add_f32_e32 v49, v17, v50
	v_add_f32_e32 v51, v48, v53
	;; [unrolled: 1-line block ×4, first 2 shown]
	v_or_b32_e32 v47, v20, v63
	v_add_f32_e32 v21, v70, v78
	v_sub_f32_e32 v45, v49, v51
	v_sub_f32_e32 v44, v16, v18
	v_add_f32_e32 v52, v49, v51
	v_add_f32_e32 v49, v46, v72
	;; [unrolled: 1-line block ×3, first 2 shown]
	v_lshlrev_b32_e32 v18, 3, v47
	v_add_f32_e32 v48, v71, v75
	v_add_f32_e32 v20, v22, v77
	v_add_f32_e32 v47, v23, v73
	v_add_f32_e32 v17, v69, v79
	v_add_f32_e32 v16, v19, v76
	ds_write2_b64 v18, v[51:52], v[49:50] offset1:16
	ds_write2_b64 v18, v[47:48], v[20:21] offset0:32 offset1:48
	ds_write2_b64 v18, v[16:17], v[44:45] offset0:64 offset1:80
	;; [unrolled: 1-line block ×4, first 2 shown]
.LBB0_11:
	s_or_b32 exec_lo, exec_lo, s1
	v_mad_u64_u32 v[44:45], null, v62, 40, s[4:5]
	s_load_dwordx4 s[4:7], s[2:3], 0x0
	s_waitcnt lgkmcnt(0)
	s_barrier
	buffer_gl0_inv
	v_add_nc_u32_e32 v67, 0x800, v61
	v_add_nc_u32_e32 v66, 0x1400, v61
	s_clause 0x2
	global_load_dwordx4 v[20:23], v[44:45], off offset:1152
	global_load_dwordx4 v[16:19], v[44:45], off offset:1168
	global_load_dwordx2 v[59:60], v[44:45], off offset:1184
	ds_read2_b64 v[44:47], v61 offset1:160
	ds_read2_b64 v[48:51], v67 offset0:64 offset1:224
	ds_read2_b64 v[52:55], v66 offset1:160
	s_waitcnt vmcnt(2) lgkmcnt(2)
	v_mul_f32_e32 v69, v46, v21
	s_waitcnt lgkmcnt(1)
	v_mul_f32_e32 v70, v49, v23
	v_mul_f32_e32 v71, v48, v23
	s_waitcnt vmcnt(1)
	v_mul_f32_e32 v72, v51, v17
	v_mul_f32_e32 v73, v50, v17
	s_waitcnt lgkmcnt(0)
	v_mul_f32_e32 v74, v53, v19
	v_mul_f32_e32 v75, v52, v19
	s_waitcnt vmcnt(0)
	v_mul_f32_e32 v76, v55, v60
	v_mul_f32_e32 v77, v54, v60
	;; [unrolled: 1-line block ×3, first 2 shown]
	v_fmac_f32_e32 v69, v47, v20
	v_fma_f32 v47, v48, v22, -v70
	v_fmac_f32_e32 v71, v49, v22
	v_fma_f32 v48, v50, v16, -v72
	;; [unrolled: 2-line block ×5, first 2 shown]
	v_add_f32_e32 v52, v47, v49
	v_sub_f32_e32 v53, v71, v75
	v_add_f32_e32 v54, v45, v71
	v_add_f32_e32 v55, v71, v75
	;; [unrolled: 1-line block ×3, first 2 shown]
	v_sub_f32_e32 v71, v73, v77
	v_add_f32_e32 v72, v69, v73
	v_add_f32_e32 v73, v73, v77
	;; [unrolled: 1-line block ×3, first 2 shown]
	v_sub_f32_e32 v47, v47, v49
	v_add_f32_e32 v68, v46, v48
	v_sub_f32_e32 v48, v48, v50
	v_fma_f32 v74, -0.5, v52, v44
	v_fma_f32 v55, -0.5, v55, v45
	v_fmac_f32_e32 v46, -0.5, v70
	v_fmac_f32_e32 v69, -0.5, v73
	v_add_f32_e32 v49, v51, v49
	v_add_f32_e32 v51, v54, v75
	;; [unrolled: 1-line block ×3, first 2 shown]
	v_fmamk_f32 v54, v53, 0x3f5db3d7, v74
	v_fmac_f32_e32 v74, 0xbf5db3d7, v53
	v_fmamk_f32 v53, v47, 0xbf5db3d7, v55
	v_fmac_f32_e32 v55, 0x3f5db3d7, v47
	v_fmamk_f32 v47, v71, 0x3f5db3d7, v46
	v_fmamk_f32 v68, v48, 0xbf5db3d7, v69
	v_fmac_f32_e32 v46, 0xbf5db3d7, v71
	v_fmac_f32_e32 v69, 0x3f5db3d7, v48
	v_add_f32_e32 v52, v72, v77
	v_mul_f32_e32 v72, 0xbf5db3d7, v47
	v_mul_f32_e32 v70, 0x3f5db3d7, v68
	v_mul_f32_e32 v71, -0.5, v46
	v_mul_f32_e32 v73, -0.5, v69
	v_add_f32_e32 v44, v49, v50
	v_fmac_f32_e32 v72, 0.5, v68
	v_fmac_f32_e32 v70, 0.5, v47
	v_fmac_f32_e32 v71, 0x3f5db3d7, v69
	v_fmac_f32_e32 v73, 0xbf5db3d7, v46
	v_add_f32_e32 v45, v51, v52
	v_sub_f32_e32 v50, v49, v50
	v_sub_f32_e32 v51, v51, v52
	v_add_f32_e32 v46, v54, v70
	v_add_f32_e32 v48, v74, v71
	;; [unrolled: 1-line block ×4, first 2 shown]
	v_sub_f32_e32 v52, v54, v70
	v_sub_f32_e32 v54, v74, v71
	v_sub_f32_e32 v53, v53, v72
	v_sub_f32_e32 v55, v55, v73
	ds_write2_b64 v61, v[44:45], v[46:47] offset1:160
	ds_write2_b64 v67, v[48:49], v[50:51] offset0:64 offset1:224
	ds_write2_b64 v66, v[52:53], v[54:55] offset1:160
	s_waitcnt lgkmcnt(0)
	s_barrier
	buffer_gl0_inv
	s_and_saveexec_b32 s3, vcc_lo
	s_cbranch_execz .LBB0_13
; %bb.12:
	v_add_co_u32 v78, s1, s14, v61
	v_add_co_ci_u32_e64 v79, null, s15, 0, s1
	v_add_nc_u32_e32 v110, 0x400, v61
	v_add_co_u32 v68, s1, 0x1800, v78
	v_add_co_ci_u32_e64 v69, s1, 0, v79, s1
	v_add_co_u32 v70, s1, 0x1e00, v78
	v_add_co_ci_u32_e64 v71, s1, 0, v79, s1
	v_add_co_u32 v76, s2, 0x2800, v78
	s_clause 0x1
	global_load_dwordx2 v[72:73], v[68:69], off offset:1536
	global_load_dwordx2 v[74:75], v[70:71], off offset:480
	v_add_co_u32 v68, s1, 0x2000, v78
	v_add_co_ci_u32_e64 v69, s1, 0, v79, s1
	s_clause 0x1
	global_load_dwordx2 v[80:81], v[70:71], off offset:960
	global_load_dwordx2 v[82:83], v[70:71], off offset:1440
	v_add_co_ci_u32_e64 v77, s1, 0, v79, s2
	s_clause 0x5
	global_load_dwordx2 v[84:85], v[70:71], off offset:1920
	global_load_dwordx2 v[86:87], v[68:69], off offset:1888
	;; [unrolled: 1-line block ×6, first 2 shown]
	v_add_co_u32 v68, s1, 0x3000, v78
	v_add_co_ci_u32_e64 v69, s1, 0, v79, s1
	v_add_co_u32 v70, s1, 0x3800, v78
	v_add_co_ci_u32_e64 v71, s1, 0, v79, s1
	s_clause 0x5
	global_load_dwordx2 v[96:97], v[68:69], off offset:192
	global_load_dwordx2 v[98:99], v[68:69], off offset:672
	;; [unrolled: 1-line block ×6, first 2 shown]
	ds_read2_b64 v[68:71], v61 offset1:60
	s_waitcnt vmcnt(15) lgkmcnt(0)
	v_mul_f32_e32 v77, v69, v73
	v_mul_f32_e32 v76, v68, v73
	s_waitcnt vmcnt(14)
	v_mul_f32_e32 v78, v71, v75
	v_mul_f32_e32 v73, v70, v75
	v_fma_f32 v75, v68, v72, -v77
	v_fmac_f32_e32 v76, v69, v72
	v_fma_f32 v72, v70, v74, -v78
	v_fmac_f32_e32 v73, v71, v74
	ds_write2_b64 v61, v[75:76], v[72:73] offset1:60
	ds_read2_b64 v[68:71], v61 offset0:120 offset1:180
	ds_read2_b64 v[72:75], v110 offset0:112 offset1:172
	;; [unrolled: 1-line block ×3, first 2 shown]
	s_waitcnt vmcnt(13) lgkmcnt(2)
	v_mul_f32_e32 v108, v69, v81
	v_mul_f32_e32 v109, v68, v81
	s_waitcnt vmcnt(12)
	v_mul_f32_e32 v111, v71, v83
	v_mul_f32_e32 v81, v70, v83
	s_waitcnt vmcnt(11) lgkmcnt(1)
	v_mul_f32_e32 v112, v73, v85
	v_mul_f32_e32 v83, v72, v85
	s_waitcnt vmcnt(10)
	v_mul_f32_e32 v113, v75, v87
	v_mul_f32_e32 v85, v74, v87
	s_waitcnt vmcnt(9) lgkmcnt(0)
	v_mul_f32_e32 v114, v77, v89
	v_mul_f32_e32 v87, v76, v89
	s_waitcnt vmcnt(8)
	v_mul_f32_e32 v115, v79, v91
	v_mul_f32_e32 v89, v78, v91
	v_fma_f32 v108, v68, v80, -v108
	v_fmac_f32_e32 v109, v69, v80
	v_fma_f32 v80, v70, v82, -v111
	v_fmac_f32_e32 v81, v71, v82
	;; [unrolled: 2-line block ×4, first 2 shown]
	v_add_nc_u32_e32 v75, 0xc00, v61
	v_fma_f32 v86, v76, v88, -v114
	v_fmac_f32_e32 v87, v77, v88
	v_fma_f32 v88, v78, v90, -v115
	v_fmac_f32_e32 v89, v79, v90
	ds_write2_b64 v61, v[108:109], v[80:81] offset0:120 offset1:180
	ds_write2_b64 v110, v[82:83], v[84:85] offset0:112 offset1:172
	ds_write2_b64 v67, v[86:87], v[88:89] offset0:104 offset1:164
	ds_read2_b64 v[67:70], v75 offset0:96 offset1:156
	v_add_nc_u32_e32 v91, 0x1000, v61
	s_waitcnt vmcnt(7) lgkmcnt(0)
	v_mul_f32_e32 v71, v68, v93
	v_mul_f32_e32 v72, v67, v93
	s_waitcnt vmcnt(6)
	v_mul_f32_e32 v73, v70, v95
	v_mul_f32_e32 v74, v69, v95
	v_fma_f32 v71, v67, v92, -v71
	v_fmac_f32_e32 v72, v68, v92
	v_fma_f32 v73, v69, v94, -v73
	v_fmac_f32_e32 v74, v70, v94
	v_add_nc_u32_e32 v92, 0x1800, v61
	ds_write2_b64 v75, v[71:72], v[73:74] offset0:96 offset1:156
	ds_read2_b64 v[67:70], v91 offset0:88 offset1:148
	ds_read2_b64 v[71:74], v66 offset0:80 offset1:140
	;; [unrolled: 1-line block ×3, first 2 shown]
	s_waitcnt vmcnt(5) lgkmcnt(2)
	v_mul_f32_e32 v79, v68, v97
	v_mul_f32_e32 v80, v67, v97
	s_waitcnt vmcnt(4)
	v_mul_f32_e32 v81, v70, v99
	v_mul_f32_e32 v82, v69, v99
	s_waitcnt vmcnt(3) lgkmcnt(1)
	v_mul_f32_e32 v83, v72, v101
	v_mul_f32_e32 v84, v71, v101
	s_waitcnt vmcnt(2)
	v_mul_f32_e32 v85, v74, v103
	v_mul_f32_e32 v86, v73, v103
	;; [unrolled: 6-line block ×3, first 2 shown]
	v_fma_f32 v79, v67, v96, -v79
	v_fmac_f32_e32 v80, v68, v96
	v_fma_f32 v81, v69, v98, -v81
	v_fmac_f32_e32 v82, v70, v98
	;; [unrolled: 2-line block ×6, first 2 shown]
	ds_write2_b64 v91, v[79:80], v[81:82] offset0:88 offset1:148
	ds_write2_b64 v66, v[83:84], v[85:86] offset0:80 offset1:140
	;; [unrolled: 1-line block ×3, first 2 shown]
.LBB0_13:
	s_or_b32 exec_lo, exec_lo, s3
	s_waitcnt lgkmcnt(0)
	s_barrier
	buffer_gl0_inv
	s_and_saveexec_b32 s1, vcc_lo
	s_cbranch_execz .LBB0_15
; %bb.14:
	v_add_nc_u32_e32 v24, 0x400, v61
	v_add_nc_u32_e32 v25, 0x800, v61
	;; [unrolled: 1-line block ×3, first 2 shown]
	ds_read2_b64 v[44:47], v61 offset1:60
	ds_read2_b64 v[48:51], v61 offset0:120 offset1:180
	v_add_nc_u32_e32 v28, 0x1400, v61
	ds_read2_b64 v[52:55], v24 offset0:112 offset1:172
	v_add_nc_u32_e32 v24, 0x1000, v61
	v_add_nc_u32_e32 v32, 0x1800, v61
	ds_read2_b64 v[36:39], v25 offset0:104 offset1:164
	ds_read2_b64 v[40:43], v26 offset0:96 offset1:156
	;; [unrolled: 1-line block ×5, first 2 shown]
.LBB0_15:
	s_or_b32 exec_lo, exec_lo, s1
	s_waitcnt lgkmcnt(3)
	v_sub_f32_e32 v41, v45, v41
	s_waitcnt lgkmcnt(1)
	v_sub_f32_e32 v28, v52, v28
	v_sub_f32_e32 v25, v49, v25
	s_waitcnt lgkmcnt(0)
	v_sub_f32_e32 v32, v36, v32
	v_sub_f32_e32 v40, v44, v40
	;; [unrolled: 1-line block ×4, first 2 shown]
	v_fma_f32 v52, v52, 2.0, -v28
	v_sub_f32_e32 v33, v37, v33
	v_fma_f32 v36, v36, 2.0, -v32
	v_sub_f32_e32 v28, v41, v28
	v_sub_f32_e32 v32, v25, v32
	v_fma_f32 v45, v45, 2.0, -v41
	v_fma_f32 v53, v53, 2.0, -v29
	;; [unrolled: 1-line block ×3, first 2 shown]
	v_sub_f32_e32 v42, v46, v42
	v_fma_f32 v37, v37, 2.0, -v33
	v_sub_f32_e32 v31, v55, v31
	v_sub_f32_e32 v26, v50, v26
	;; [unrolled: 1-line block ×3, first 2 shown]
	v_add_f32_e32 v29, v29, v40
	v_fma_f32 v41, v41, 2.0, -v28
	v_add_f32_e32 v33, v33, v24
	v_fma_f32 v25, v25, 2.0, -v32
	v_fma_f32 v44, v44, 2.0, -v40
	;; [unrolled: 1-line block ×3, first 2 shown]
	v_sub_f32_e32 v43, v47, v43
	v_sub_f32_e32 v30, v54, v30
	;; [unrolled: 1-line block ×4, first 2 shown]
	v_fma_f32 v55, v55, 2.0, -v31
	v_fma_f32 v39, v39, 2.0, -v35
	;; [unrolled: 1-line block ×4, first 2 shown]
	v_add_f32_e32 v31, v31, v42
	v_add_f32_e32 v35, v35, v26
	v_fmamk_f32 v70, v25, 0xbf3504f3, v41
	v_fma_f32 v46, v46, 2.0, -v42
	v_fma_f32 v50, v50, 2.0, -v26
	;; [unrolled: 1-line block ×3, first 2 shown]
	v_sub_f32_e32 v52, v44, v52
	v_sub_f32_e32 v53, v45, v53
	;; [unrolled: 1-line block ×5, first 2 shown]
	v_fma_f32 v42, v42, 2.0, -v31
	v_sub_f32_e32 v34, v27, v34
	v_fmamk_f32 v67, v24, 0xbf3504f3, v40
	v_fma_f32 v26, v26, 2.0, -v35
	v_fmac_f32_e32 v70, 0xbf3504f3, v24
	v_fma_f32 v47, v47, 2.0, -v43
	v_fma_f32 v48, v48, 2.0, -v36
	;; [unrolled: 1-line block ×3, first 2 shown]
	v_fmac_f32_e32 v67, 0x3f3504f3, v25
	v_fma_f32 v25, v27, 2.0, -v34
	v_fmamk_f32 v71, v33, 0x3f3504f3, v29
	v_add_f32_e32 v72, v37, v52
	v_sub_f32_e32 v73, v53, v36
	v_fma_f32 v36, v41, 2.0, -v70
	v_fmamk_f32 v41, v26, 0xbf3504f3, v42
	v_fma_f32 v54, v54, 2.0, -v30
	v_fma_f32 v51, v51, 2.0, -v27
	;; [unrolled: 1-line block ×3, first 2 shown]
	v_fmamk_f32 v74, v32, 0x3f3504f3, v28
	v_fmac_f32_e32 v71, 0x3f3504f3, v32
	v_fma_f32 v32, v52, 2.0, -v72
	v_fmamk_f32 v52, v25, 0xbf3504f3, v43
	v_fmac_f32_e32 v41, 0x3f3504f3, v25
	v_sub_f32_e32 v54, v46, v54
	v_sub_f32_e32 v55, v47, v55
	;; [unrolled: 1-line block ×4, first 2 shown]
	v_fmac_f32_e32 v52, 0xbf3504f3, v26
	v_fma_f32 v26, v42, 2.0, -v41
	v_fmamk_f32 v42, v35, 0x3f3504f3, v31
	v_fma_f32 v45, v45, 2.0, -v53
	v_fma_f32 v49, v49, 2.0, -v37
	;; [unrolled: 1-line block ×6, first 2 shown]
	v_fmamk_f32 v76, v34, 0x3f3504f3, v66
	v_fmac_f32_e32 v42, 0x3f3504f3, v34
	v_sub_f32_e32 v68, v44, v48
	v_sub_f32_e32 v69, v45, v49
	v_fmac_f32_e32 v74, 0xbf3504f3, v33
	v_fma_f32 v48, v29, 2.0, -v71
	v_sub_f32_e32 v49, v46, v47
	v_sub_f32_e32 v50, v30, v50
	;; [unrolled: 1-line block ×3, first 2 shown]
	v_fmac_f32_e32 v76, 0xbf3504f3, v35
	v_fma_f32 v35, v31, 2.0, -v42
	v_fma_f32 v27, v44, 2.0, -v68
	;; [unrolled: 1-line block ×7, first 2 shown]
	v_add_f32_e32 v39, v39, v54
	v_fma_f32 v33, v43, 2.0, -v52
	v_fma_f32 v38, v55, 2.0, -v75
	;; [unrolled: 1-line block ×3, first 2 shown]
	v_fmamk_f32 v46, v35, 0xbec3ef15, v48
	v_fma_f32 v34, v54, 2.0, -v39
	v_sub_f32_e32 v29, v44, v25
	v_fmamk_f32 v45, v38, 0xbf3504f3, v37
	v_fmamk_f32 v47, v43, 0xbec3ef15, v53
	v_fmac_f32_e32 v46, 0x3f6c835e, v43
	v_fma_f32 v40, v40, 2.0, -v67
	v_fma_f32 v25, v44, 2.0, -v29
	v_fmamk_f32 v44, v34, 0xbf3504f3, v32
	v_fmac_f32_e32 v45, 0xbf3504f3, v34
	v_fmac_f32_e32 v47, 0xbf6c835e, v35
	v_fma_f32 v34, v48, 2.0, -v46
	v_add_f32_e32 v48, v50, v68
	v_fmamk_f32 v50, v41, 0x3ec3ef15, v67
	v_fmamk_f32 v30, v26, 0xbf6c835e, v40
	;; [unrolled: 1-line block ×4, first 2 shown]
	v_fma_f32 v35, v53, 2.0, -v47
	v_fmac_f32_e32 v50, 0x3f6c835e, v52
	v_fmamk_f32 v52, v39, 0x3f3504f3, v72
	v_fmamk_f32 v53, v75, 0x3f3504f3, v73
	;; [unrolled: 1-line block ×4, first 2 shown]
	v_sub_f32_e32 v28, v27, v24
	v_fmac_f32_e32 v30, 0x3ec3ef15, v33
	v_fmac_f32_e32 v31, 0xbec3ef15, v26
	;; [unrolled: 1-line block ×3, first 2 shown]
	v_sub_f32_e32 v49, v69, v49
	v_fmac_f32_e32 v51, 0xbf6c835e, v41
	v_fmac_f32_e32 v52, 0x3f3504f3, v75
	v_fmac_f32_e32 v53, 0xbf3504f3, v39
	v_fmac_f32_e32 v54, 0x3ec3ef15, v76
	v_fmac_f32_e32 v55, 0xbec3ef15, v42
	v_fma_f32 v24, v27, 2.0, -v28
	v_fma_f32 v26, v40, 2.0, -v30
	v_fma_f32 v27, v36, 2.0, -v31
	v_fma_f32 v32, v32, 2.0, -v44
	v_fma_f32 v33, v37, 2.0, -v45
	v_fma_f32 v36, v68, 2.0, -v48
	v_fma_f32 v37, v69, 2.0, -v49
	v_fma_f32 v38, v67, 2.0, -v50
	v_fma_f32 v39, v70, 2.0, -v51
	v_fma_f32 v40, v72, 2.0, -v52
	v_fma_f32 v41, v73, 2.0, -v53
	v_fma_f32 v42, v71, 2.0, -v54
	v_fma_f32 v43, v74, 2.0, -v55
	s_barrier
	buffer_gl0_inv
	s_and_saveexec_b32 s1, vcc_lo
	s_cbranch_execz .LBB0_17
; %bb.16:
	v_mov_b32_e32 v66, 3
	v_lshlrev_b32_sdwa v64, v66, v64 dst_sel:DWORD dst_unused:UNUSED_PAD src0_sel:DWORD src1_sel:WORD_0
	ds_write_b128 v64, v[24:27]
	ds_write_b128 v64, v[32:35] offset:16
	ds_write_b128 v64, v[36:39] offset:32
	;; [unrolled: 1-line block ×7, first 2 shown]
.LBB0_17:
	s_or_b32 exec_lo, exec_lo, s1
	s_waitcnt lgkmcnt(0)
	s_barrier
	buffer_gl0_inv
	s_and_saveexec_b32 s1, s0
	s_cbranch_execz .LBB0_19
; %bb.18:
	v_add_nc_u32_e32 v28, 0x400, v61
	v_add_nc_u32_e32 v29, 0x800, v61
	;; [unrolled: 1-line block ×4, first 2 shown]
	ds_read2_b64 v[24:27], v61 offset1:96
	ds_read2_b64 v[32:35], v28 offset0:64 offset1:160
	ds_read2_b64 v[36:39], v29 offset0:128 offset1:224
	;; [unrolled: 1-line block ×3, first 2 shown]
	ds_read2_b64 v[28:31], v31 offset1:96
.LBB0_19:
	s_or_b32 exec_lo, exec_lo, s1
	s_waitcnt lgkmcnt(0)
	s_barrier
	buffer_gl0_inv
	s_and_saveexec_b32 s1, s0
	s_cbranch_execz .LBB0_21
; %bb.20:
	v_mul_f32_e32 v44, v3, v36
	v_mul_f32_e32 v45, v15, v40
	;; [unrolled: 1-line block ×5, first 2 shown]
	v_fma_f32 v44, v2, v37, -v44
	v_fma_f32 v45, v14, v41, -v45
	v_mul_f32_e32 v48, v7, v33
	v_mul_f32_e32 v11, v11, v29
	v_fma_f32 v7, v6, v33, -v46
	v_fmac_f32_e32 v15, v14, v40
	v_add_f32_e32 v33, v45, v44
	v_mul_f32_e32 v14, v9, v43
	v_mul_f32_e32 v9, v9, v42
	v_fmac_f32_e32 v48, v6, v32
	v_fmac_f32_e32 v11, v10, v28
	v_fma_f32 v28, -0.5, v33, v25
	v_mul_f32_e32 v32, v3, v37
	v_mul_f32_e32 v33, v1, v35
	;; [unrolled: 1-line block ×4, first 2 shown]
	v_fmac_f32_e32 v14, v8, v42
	v_fma_f32 v8, v8, v43, -v9
	v_mul_f32_e32 v1, v1, v34
	v_mul_f32_e32 v9, v58, v30
	v_fmac_f32_e32 v32, v2, v36
	v_mul_f32_e32 v2, v58, v31
	v_fmac_f32_e32 v33, v0, v34
	v_fmac_f32_e32 v37, v12, v38
	v_mul_f32_e32 v36, v5, v27
	v_fma_f32 v12, v12, v39, -v13
	v_mul_f32_e32 v5, v5, v26
	v_fma_f32 v0, v0, v35, -v1
	v_fma_f32 v9, v57, v31, -v9
	;; [unrolled: 1-line block ×3, first 2 shown]
	v_sub_f32_e32 v3, v48, v11
	v_fmac_f32_e32 v2, v57, v30
	v_fmac_f32_e32 v36, v4, v26
	v_fma_f32 v4, v4, v27, -v5
	v_add_f32_e32 v5, v8, v12
	v_sub_f32_e32 v30, v0, v12
	v_sub_f32_e32 v31, v9, v8
	v_sub_f32_e32 v6, v7, v44
	v_sub_f32_e32 v10, v29, v45
	v_add_f32_e32 v13, v14, v37
	v_fma_f32 v26, -0.5, v5, v4
	v_sub_f32_e32 v5, v33, v2
	v_add_f32_e32 v30, v31, v30
	v_fmamk_f32 v31, v3, 0xbf737871, v28
	v_sub_f32_e32 v41, v32, v15
	v_fmac_f32_e32 v28, 0x3f737871, v3
	v_fma_f32 v13, -0.5, v13, v36
	v_sub_f32_e32 v27, v0, v9
	v_fmamk_f32 v34, v5, 0xbf737871, v26
	v_sub_f32_e32 v35, v37, v14
	v_add_f32_e32 v6, v10, v6
	v_fmac_f32_e32 v31, 0xbf167918, v41
	v_add_f32_e32 v43, v9, v0
	v_sub_f32_e32 v51, v12, v0
	v_fmac_f32_e32 v26, 0x3f737871, v5
	v_fmac_f32_e32 v28, 0x3f167918, v41
	v_add_f32_e32 v0, v0, v4
	v_sub_f32_e32 v1, v33, v37
	v_sub_f32_e32 v38, v2, v14
	v_fmamk_f32 v39, v27, 0x3f737871, v13
	v_sub_f32_e32 v40, v12, v8
	v_fmac_f32_e32 v34, 0xbf167918, v35
	v_fmac_f32_e32 v31, 0x3e9e377a, v6
	v_fmac_f32_e32 v13, 0xbf737871, v27
	v_fmac_f32_e32 v26, 0x3f167918, v35
	v_fmac_f32_e32 v28, 0x3e9e377a, v6
	v_add_f32_e32 v6, v7, v25
	v_add_f32_e32 v0, v12, v0
	;; [unrolled: 1-line block ×3, first 2 shown]
	v_fmac_f32_e32 v39, 0x3f167918, v40
	v_fmac_f32_e32 v34, 0x3e9e377a, v30
	v_add_f32_e32 v42, v29, v7
	v_add_f32_e32 v47, v2, v33
	v_sub_f32_e32 v52, v8, v9
	v_fmac_f32_e32 v13, 0xbf167918, v40
	v_fmac_f32_e32 v26, 0x3e9e377a, v30
	v_add_f32_e32 v30, v15, v32
	v_add_f32_e32 v6, v44, v6
	;; [unrolled: 1-line block ×4, first 2 shown]
	v_fma_f32 v43, -0.5, v43, v4
	v_fmac_f32_e32 v39, 0x3e9e377a, v38
	v_fma_f32 v42, -0.5, v42, v25
	v_fma_f32 v47, -0.5, v47, v36
	v_fmac_f32_e32 v13, 0x3e9e377a, v38
	v_fma_f32 v30, -0.5, v30, v24
	v_sub_f32_e32 v4, v7, v29
	v_sub_f32_e32 v25, v44, v45
	v_add_f32_e32 v6, v45, v6
	v_fma_f32 v38, -0.5, v8, v24
	v_fmamk_f32 v53, v35, 0x3f737871, v43
	v_fmac_f32_e32 v43, 0xbf737871, v35
	v_sub_f32_e32 v46, v44, v7
	v_sub_f32_e32 v49, v45, v29
	;; [unrolled: 1-line block ×3, first 2 shown]
	v_fmamk_f32 v55, v40, 0xbf737871, v47
	v_fmac_f32_e32 v47, 0x3f737871, v40
	v_sub_f32_e32 v7, v48, v32
	v_sub_f32_e32 v12, v11, v15
	v_fmamk_f32 v35, v4, 0x3f737871, v30
	v_add_f32_e32 v6, v29, v6
	v_add_f32_e32 v29, v9, v0
	v_sub_f32_e32 v0, v32, v48
	v_sub_f32_e32 v8, v15, v11
	v_fmamk_f32 v40, v25, 0xbf737871, v38
	v_fmac_f32_e32 v38, 0x3f737871, v25
	v_add_f32_e32 v24, v48, v24
	v_add_f32_e32 v33, v33, v36
	v_fmac_f32_e32 v30, 0xbf737871, v4
	v_sub_f32_e32 v54, v14, v2
	v_add_f32_e32 v51, v52, v51
	v_fmac_f32_e32 v53, 0xbf167918, v5
	v_fmac_f32_e32 v43, 0x3f167918, v5
	v_mul_f32_e32 v10, 0xbf4f1bbd, v34
	v_add_f32_e32 v12, v12, v7
	v_fmac_f32_e32 v35, 0x3f167918, v25
	v_add_f32_e32 v8, v8, v0
	v_fmac_f32_e32 v40, 0x3f167918, v4
	v_fmac_f32_e32 v38, 0xbf167918, v4
	v_add_f32_e32 v24, v32, v24
	v_add_f32_e32 v32, v37, v33
	v_fmac_f32_e32 v30, 0xbf167918, v25
	v_fmamk_f32 v57, v41, 0x3f737871, v42
	v_add_f32_e32 v50, v54, v50
	v_fmac_f32_e32 v55, 0x3f167918, v27
	v_fmac_f32_e32 v53, 0x3e9e377a, v51
	v_fmac_f32_e32 v42, 0xbf737871, v41
	v_fmac_f32_e32 v47, 0xbf167918, v27
	v_fmac_f32_e32 v43, 0x3e9e377a, v51
	v_fmac_f32_e32 v10, 0x3f167918, v39
	v_mul_f32_e32 v27, 0x3f4f1bbd, v26
	v_fmac_f32_e32 v35, 0x3e9e377a, v12
	v_fmac_f32_e32 v40, 0x3e9e377a, v8
	;; [unrolled: 1-line block ×3, first 2 shown]
	v_add_f32_e32 v4, v15, v24
	v_add_f32_e32 v8, v14, v32
	v_mul_f32_e32 v32, 0xbf167918, v26
	v_fmac_f32_e32 v30, 0x3e9e377a, v12
	v_mul_u32_u24_e32 v12, 0xa0, v65
	v_add_f32_e32 v46, v49, v46
	v_fmac_f32_e32 v57, 0xbf167918, v3
	v_fmac_f32_e32 v55, 0x3e9e377a, v50
	v_mul_f32_e32 v49, 0xbe9e377a, v53
	v_fmac_f32_e32 v42, 0x3f167918, v3
	v_fmac_f32_e32 v47, 0x3e9e377a, v50
	v_mul_f32_e32 v50, 0x3e9e377a, v43
	v_mul_f32_e32 v36, 0xbf737871, v53
	;; [unrolled: 1-line block ×4, first 2 shown]
	v_sub_f32_e32 v1, v31, v10
	v_fmac_f32_e32 v27, 0x3f167918, v13
	v_add_f32_e32 v14, v11, v4
	v_add_f32_e32 v2, v2, v8
	v_fmac_f32_e32 v32, 0x3f4f1bbd, v13
	v_add_f32_e32 v11, v31, v10
	v_or_b32_e32 v10, v12, v63
	v_fmac_f32_e32 v57, 0x3e9e377a, v46
	v_fmac_f32_e32 v49, 0x3f737871, v55
	;; [unrolled: 1-line block ×7, first 2 shown]
	v_sub_f32_e32 v7, v28, v27
	v_add_f32_e32 v25, v28, v27
	v_add_f32_e32 v27, v6, v29
	;; [unrolled: 1-line block ×4, first 2 shown]
	v_lshlrev_b32_e32 v28, 3, v10
	v_sub_f32_e32 v8, v14, v2
	v_add_f32_e32 v13, v57, v49
	v_add_f32_e32 v15, v42, v50
	;; [unrolled: 1-line block ×4, first 2 shown]
	v_sub_f32_e32 v9, v6, v29
	v_add_f32_e32 v10, v35, v34
	v_sub_f32_e32 v5, v42, v50
	v_sub_f32_e32 v4, v38, v33
	;; [unrolled: 1-line block ×6, first 2 shown]
	ds_write2_b64 v28, v[26:27], v[24:25] offset1:16
	ds_write2_b64 v28, v[14:15], v[12:13] offset0:32 offset1:48
	ds_write2_b64 v28, v[10:11], v[8:9] offset0:64 offset1:80
	;; [unrolled: 1-line block ×4, first 2 shown]
.LBB0_21:
	s_or_b32 exec_lo, exec_lo, s1
	s_waitcnt lgkmcnt(0)
	s_barrier
	buffer_gl0_inv
	ds_read2_b64 v[2:5], v61 offset1:160
	v_add_nc_u32_e32 v1, 0x800, v61
	v_add_nc_u32_e32 v0, 0x1400, v61
	ds_read2_b64 v[6:9], v1 offset0:64 offset1:224
	ds_read2_b64 v[10:13], v0 offset1:160
	s_waitcnt lgkmcnt(2)
	v_mul_f32_e32 v14, v21, v5
	v_mul_f32_e32 v15, v21, v4
	v_fmac_f32_e32 v14, v20, v4
	v_fma_f32 v4, v20, v5, -v15
	s_waitcnt lgkmcnt(1)
	v_mul_f32_e32 v5, v23, v7
	v_mul_f32_e32 v15, v23, v6
	;; [unrolled: 1-line block ×4, first 2 shown]
	s_waitcnt lgkmcnt(0)
	v_mul_f32_e32 v21, v19, v11
	v_mul_f32_e32 v19, v19, v10
	;; [unrolled: 1-line block ×4, first 2 shown]
	v_fmac_f32_e32 v5, v22, v6
	v_fma_f32 v6, v22, v7, -v15
	v_fmac_f32_e32 v20, v16, v8
	v_fma_f32 v7, v16, v9, -v17
	v_fma_f32 v8, v18, v11, -v19
	;; [unrolled: 1-line block ×3, first 2 shown]
	v_fmac_f32_e32 v21, v18, v10
	v_fmac_f32_e32 v23, v59, v12
	v_add_f32_e32 v13, v3, v6
	v_sub_f32_e32 v12, v6, v8
	v_add_f32_e32 v6, v6, v8
	v_add_f32_e32 v17, v7, v9
	;; [unrolled: 1-line block ×4, first 2 shown]
	v_sub_f32_e32 v5, v5, v21
	v_add_f32_e32 v15, v20, v23
	v_add_f32_e32 v16, v4, v7
	v_sub_f32_e32 v18, v20, v23
	v_fma_f32 v19, -0.5, v6, v3
	v_fmac_f32_e32 v4, -0.5, v17
	v_fma_f32 v11, -0.5, v11, v2
	v_add_f32_e32 v10, v10, v21
	v_add_f32_e32 v2, v14, v20
	v_fmamk_f32 v21, v5, 0x3f5db3d7, v19
	v_fmac_f32_e32 v14, -0.5, v15
	v_sub_f32_e32 v3, v7, v9
	v_fmac_f32_e32 v19, 0xbf5db3d7, v5
	v_fmamk_f32 v5, v18, 0x3f5db3d7, v4
	v_fmac_f32_e32 v4, 0xbf5db3d7, v18
	v_fmamk_f32 v17, v12, 0xbf5db3d7, v11
	;; [unrolled: 2-line block ×3, first 2 shown]
	v_mul_f32_e32 v12, 0xbf5db3d7, v5
	v_add_f32_e32 v9, v16, v9
	v_mul_f32_e32 v16, 0.5, v5
	v_fmac_f32_e32 v14, 0x3f5db3d7, v3
	v_mul_f32_e32 v15, 0xbf5db3d7, v4
	v_mul_f32_e32 v18, -0.5, v4
	v_add_f32_e32 v13, v13, v8
	v_add_f32_e32 v8, v2, v23
	v_fmac_f32_e32 v12, 0.5, v6
	v_fmac_f32_e32 v16, 0x3f5db3d7, v6
	v_fmac_f32_e32 v15, -0.5, v14
	v_fmac_f32_e32 v18, 0x3f5db3d7, v14
	v_add_f32_e32 v2, v10, v8
	v_add_f32_e32 v4, v17, v12
	;; [unrolled: 1-line block ×6, first 2 shown]
	v_sub_f32_e32 v8, v10, v8
	v_sub_f32_e32 v9, v13, v9
	;; [unrolled: 1-line block ×6, first 2 shown]
	ds_write2_b64 v61, v[2:3], v[4:5] offset1:160
	ds_write2_b64 v1, v[6:7], v[8:9] offset0:64 offset1:224
	ds_write2_b64 v0, v[10:11], v[12:13] offset1:160
	s_waitcnt lgkmcnt(0)
	s_barrier
	buffer_gl0_inv
	s_and_b32 exec_lo, exec_lo, vcc_lo
	s_cbranch_execz .LBB0_23
; %bb.22:
	v_add_co_u32 v60, s0, s14, v61
	s_clause 0x4
	global_load_dwordx2 v[22:23], v61, s[14:15]
	global_load_dwordx2 v[24:25], v61, s[14:15] offset:480
	global_load_dwordx2 v[26:27], v61, s[14:15] offset:960
	;; [unrolled: 1-line block ×4, first 2 shown]
	v_add_co_ci_u32_e64 v74, null, s15, 0, s0
	v_add_co_u32 v2, vcc_lo, 0x800, v60
	v_mad_u64_u32 v[4:5], null, s4, v62, 0
	v_add_co_ci_u32_e32 v3, vcc_lo, 0, v74, vcc_lo
	v_add_co_u32 v36, vcc_lo, 0x1000, v60
	s_clause 0x1
	global_load_dwordx2 v[32:33], v[2:3], off offset:352
	global_load_dwordx2 v[34:35], v[2:3], off offset:832
	v_add_co_ci_u32_e32 v37, vcc_lo, 0, v74, vcc_lo
	s_clause 0x4
	global_load_dwordx2 v[38:39], v[2:3], off offset:1312
	global_load_dwordx2 v[40:41], v[2:3], off offset:1792
	;; [unrolled: 1-line block ×5, first 2 shown]
	v_mad_u64_u32 v[2:3], null, s6, v56, 0
	ds_read_b64 v[48:49], v61
	ds_read_b64 v[64:65], v61 offset:3840
	ds_read2_b64 v[10:13], v1 offset0:44 offset1:104
	v_add_nc_u32_e32 v1, 0xc00, v61
	v_add_nc_u32_e32 v18, 0x1000, v61
	s_mul_i32 s3, s5, 0x1e0
	v_mad_u64_u32 v[6:7], null, s7, v56, v[3:4]
	ds_read2_b64 v[14:17], v1 offset0:36 offset1:156
	ds_read2_b64 v[18:21], v18 offset0:88 offset1:148
	s_mul_i32 s2, s4, 0x1e0
	s_mov_b32 s0, 0x11111111
	s_mov_b32 s1, 0x3f511111
	v_mad_u64_u32 v[7:8], null, s5, v62, v[5:6]
	v_mov_b32_e32 v3, v6
	s_mul_hi_u32 s5, s4, 0x1e0
	s_add_i32 s3, s5, s3
	v_lshlrev_b64 v[2:3], 3, v[2:3]
	v_mov_b32_e32 v5, v7
	ds_read2_b64 v[6:9], v61 offset0:180 offset1:240
	v_lshlrev_b64 v[4:5], 3, v[4:5]
	v_add_co_u32 v2, vcc_lo, s12, v2
	v_add_co_ci_u32_e32 v3, vcc_lo, s13, v3, vcc_lo
	v_add_co_u32 v50, vcc_lo, v2, v4
	v_add_co_ci_u32_e32 v51, vcc_lo, v3, v5, vcc_lo
	ds_read2_b64 v[2:5], v61 offset0:60 offset1:120
	v_add_co_u32 v52, vcc_lo, v50, s2
	v_add_co_ci_u32_e32 v53, vcc_lo, s3, v51, vcc_lo
	v_add_co_u32 v54, vcc_lo, v52, s2
	v_add_co_ci_u32_e32 v55, vcc_lo, s3, v53, vcc_lo
	v_add_co_u32 v56, vcc_lo, v54, s2
	v_add_co_ci_u32_e32 v57, vcc_lo, s3, v55, vcc_lo
	v_add_co_u32 v58, vcc_lo, v56, s2
	v_add_co_ci_u32_e32 v59, vcc_lo, s3, v57, vcc_lo
	v_add_co_u32 v62, vcc_lo, v58, s2
	v_add_co_ci_u32_e32 v63, vcc_lo, s3, v59, vcc_lo
	v_add_co_u32 v66, vcc_lo, v62, s2
	v_add_co_ci_u32_e32 v67, vcc_lo, s3, v63, vcc_lo
	v_add_co_u32 v68, vcc_lo, v66, s2
	v_add_co_ci_u32_e32 v69, vcc_lo, s3, v67, vcc_lo
	v_add_co_u32 v70, vcc_lo, v68, s2
	v_add_co_ci_u32_e32 v71, vcc_lo, s3, v69, vcc_lo
	v_add_co_u32 v72, vcc_lo, v70, s2
	v_add_co_ci_u32_e32 v73, vcc_lo, s3, v71, vcc_lo
	s_waitcnt vmcnt(11) lgkmcnt(6)
	v_mul_f32_e32 v1, v49, v23
	s_waitcnt vmcnt(10) lgkmcnt(0)
	v_mul_f32_e32 v75, v3, v25
	v_mul_f32_e32 v23, v48, v23
	;; [unrolled: 1-line block ×3, first 2 shown]
	s_waitcnt vmcnt(7)
	v_mul_f32_e32 v78, v9, v31
	v_mul_f32_e32 v31, v8, v31
	;; [unrolled: 1-line block ×5, first 2 shown]
	v_fmac_f32_e32 v75, v2, v24
	v_fma_f32 v9, v30, v9, -v31
	v_mul_f32_e32 v29, v6, v29
	v_fmac_f32_e32 v1, v48, v22
	v_fma_f32 v22, v22, v49, -v23
	v_fma_f32 v23, v24, v3, -v25
	v_fmac_f32_e32 v76, v4, v26
	v_fmac_f32_e32 v77, v6, v28
	;; [unrolled: 1-line block ×3, first 2 shown]
	v_cvt_f64_f32_e32 v[48:49], v9
	s_waitcnt vmcnt(6)
	v_mul_f32_e32 v9, v11, v33
	v_mul_f32_e32 v33, v10, v33
	v_fma_f32 v24, v26, v5, -v27
	v_cvt_f64_f32_e32 v[5:6], v75
	s_waitcnt vmcnt(5)
	v_mul_f32_e32 v75, v13, v35
	v_mul_f32_e32 v35, v12, v35
	v_fma_f32 v28, v28, v7, -v29
	v_cvt_f64_f32_e32 v[3:4], v22
	v_cvt_f64_f32_e32 v[7:8], v23
	;; [unrolled: 1-line block ×3, first 2 shown]
	s_waitcnt vmcnt(4)
	v_mul_f32_e32 v76, v15, v39
	v_mul_f32_e32 v39, v14, v39
	v_cvt_f64_f32_e32 v[26:27], v77
	s_waitcnt vmcnt(3)
	v_mul_f32_e32 v77, v65, v41
	v_mul_f32_e32 v41, v64, v41
	v_cvt_f64_f32_e32 v[30:31], v78
	;; [unrolled: 4-line block ×3, first 2 shown]
	s_waitcnt vmcnt(1)
	v_mul_f32_e32 v79, v19, v45
	v_mul_f32_e32 v45, v18, v45
	v_fmac_f32_e32 v9, v10, v32
	v_fma_f32 v11, v32, v11, -v33
	s_waitcnt vmcnt(0)
	v_mul_f32_e32 v80, v21, v47
	v_mul_f32_e32 v47, v20, v47
	v_fmac_f32_e32 v75, v12, v34
	v_fma_f32 v32, v34, v13, -v35
	v_cvt_f64_f32_e32 v[24:25], v24
	v_fmac_f32_e32 v76, v14, v38
	v_fma_f32 v33, v38, v15, -v39
	v_cvt_f64_f32_e32 v[28:29], v28
	v_fmac_f32_e32 v77, v64, v40
	v_fma_f32 v34, v40, v65, -v41
	v_fmac_f32_e32 v78, v16, v42
	v_fma_f32 v40, v42, v17, -v43
	v_fmac_f32_e32 v79, v18, v44
	v_fma_f32 v44, v44, v19, -v45
	v_cvt_f64_f32_e32 v[9:10], v9
	v_cvt_f64_f32_e32 v[11:12], v11
	v_fmac_f32_e32 v80, v20, v46
	v_fma_f32 v21, v46, v21, -v47
	v_cvt_f64_f32_e32 v[13:14], v75
	v_cvt_f64_f32_e32 v[15:16], v32
	;; [unrolled: 1-line block ×12, first 2 shown]
	v_mul_f64 v[1:2], v[1:2], s[0:1]
	v_mul_f64 v[3:4], v[3:4], s[0:1]
	;; [unrolled: 1-line block ×24, first 2 shown]
	v_cvt_f32_f64_e32 v1, v[1:2]
	v_cvt_f32_f64_e32 v2, v[3:4]
	;; [unrolled: 1-line block ×24, first 2 shown]
	v_add_co_u32 v25, vcc_lo, v72, s2
	v_add_co_ci_u32_e32 v26, vcc_lo, s3, v73, vcc_lo
	v_add_co_u32 v27, vcc_lo, v25, s2
	v_add_co_ci_u32_e32 v28, vcc_lo, s3, v26, vcc_lo
	global_store_dwordx2 v[50:51], v[1:2], off
	global_store_dwordx2 v[52:53], v[3:4], off
	;; [unrolled: 1-line block ×12, first 2 shown]
	global_load_dwordx2 v[4:5], v[36:37], off offset:1664
	ds_read2_b64 v[0:3], v0 offset0:80 offset1:140
	s_waitcnt vmcnt(0) lgkmcnt(0)
	v_mul_f32_e32 v6, v1, v5
	v_mul_f32_e32 v5, v0, v5
	v_fmac_f32_e32 v6, v0, v4
	v_fma_f32 v4, v4, v1, -v5
	v_cvt_f64_f32_e32 v[0:1], v6
	v_cvt_f64_f32_e32 v[4:5], v4
	v_mul_f64 v[0:1], v[0:1], s[0:1]
	v_mul_f64 v[4:5], v[4:5], s[0:1]
	v_cvt_f32_f64_e32 v0, v[0:1]
	v_cvt_f32_f64_e32 v1, v[4:5]
	v_add_co_u32 v4, vcc_lo, v27, s2
	v_add_co_ci_u32_e32 v5, vcc_lo, s3, v28, vcc_lo
	v_add_co_u32 v6, vcc_lo, 0x1800, v60
	v_add_co_ci_u32_e32 v7, vcc_lo, 0, v74, vcc_lo
	global_store_dwordx2 v[4:5], v[0:1], off
	global_load_dwordx2 v[0:1], v[6:7], off offset:96
	v_add_co_u32 v4, vcc_lo, v4, s2
	v_add_co_ci_u32_e32 v5, vcc_lo, s3, v5, vcc_lo
	s_waitcnt vmcnt(0)
	v_mul_f32_e32 v8, v3, v1
	v_mul_f32_e32 v1, v2, v1
	v_fmac_f32_e32 v8, v2, v0
	v_fma_f32 v2, v0, v3, -v1
	v_cvt_f64_f32_e32 v[0:1], v8
	v_cvt_f64_f32_e32 v[2:3], v2
	v_mul_f64 v[0:1], v[0:1], s[0:1]
	v_mul_f64 v[2:3], v[2:3], s[0:1]
	v_cvt_f32_f64_e32 v0, v[0:1]
	v_cvt_f32_f64_e32 v1, v[2:3]
	global_store_dwordx2 v[4:5], v[0:1], off
	global_load_dwordx2 v[8:9], v[6:7], off offset:576
	v_add_nc_u32_e32 v0, 0x1800, v61
	v_add_co_u32 v4, vcc_lo, v4, s2
	v_add_co_ci_u32_e32 v5, vcc_lo, s3, v5, vcc_lo
	ds_read2_b64 v[0:3], v0 offset0:72 offset1:132
	s_waitcnt vmcnt(0) lgkmcnt(0)
	v_mul_f32_e32 v10, v1, v9
	v_mul_f32_e32 v9, v0, v9
	v_fmac_f32_e32 v10, v0, v8
	v_fma_f32 v8, v8, v1, -v9
	v_cvt_f64_f32_e32 v[0:1], v10
	v_cvt_f64_f32_e32 v[8:9], v8
	v_mul_f64 v[0:1], v[0:1], s[0:1]
	v_mul_f64 v[8:9], v[8:9], s[0:1]
	v_cvt_f32_f64_e32 v0, v[0:1]
	v_cvt_f32_f64_e32 v1, v[8:9]
	global_store_dwordx2 v[4:5], v[0:1], off
	global_load_dwordx2 v[0:1], v[6:7], off offset:1056
	s_waitcnt vmcnt(0)
	v_mul_f32_e32 v6, v3, v1
	v_mul_f32_e32 v1, v2, v1
	v_fmac_f32_e32 v6, v2, v0
	v_fma_f32 v2, v0, v3, -v1
	v_cvt_f64_f32_e32 v[0:1], v6
	v_cvt_f64_f32_e32 v[2:3], v2
	v_mul_f64 v[0:1], v[0:1], s[0:1]
	v_mul_f64 v[2:3], v[2:3], s[0:1]
	v_cvt_f32_f64_e32 v0, v[0:1]
	v_cvt_f32_f64_e32 v1, v[2:3]
	v_add_co_u32 v2, vcc_lo, v4, s2
	v_add_co_ci_u32_e32 v3, vcc_lo, s3, v5, vcc_lo
	global_store_dwordx2 v[2:3], v[0:1], off
.LBB0_23:
	s_endpgm
	.section	.rodata,"a",@progbits
	.p2align	6, 0x0
	.amdhsa_kernel bluestein_single_fwd_len960_dim1_sp_op_CI_CI
		.amdhsa_group_segment_fixed_size 7680
		.amdhsa_private_segment_fixed_size 0
		.amdhsa_kernarg_size 104
		.amdhsa_user_sgpr_count 6
		.amdhsa_user_sgpr_private_segment_buffer 1
		.amdhsa_user_sgpr_dispatch_ptr 0
		.amdhsa_user_sgpr_queue_ptr 0
		.amdhsa_user_sgpr_kernarg_segment_ptr 1
		.amdhsa_user_sgpr_dispatch_id 0
		.amdhsa_user_sgpr_flat_scratch_init 0
		.amdhsa_user_sgpr_private_segment_size 0
		.amdhsa_wavefront_size32 1
		.amdhsa_uses_dynamic_stack 0
		.amdhsa_system_sgpr_private_segment_wavefront_offset 0
		.amdhsa_system_sgpr_workgroup_id_x 1
		.amdhsa_system_sgpr_workgroup_id_y 0
		.amdhsa_system_sgpr_workgroup_id_z 0
		.amdhsa_system_sgpr_workgroup_info 0
		.amdhsa_system_vgpr_workitem_id 0
		.amdhsa_next_free_vgpr 116
		.amdhsa_next_free_sgpr 16
		.amdhsa_reserve_vcc 1
		.amdhsa_reserve_flat_scratch 0
		.amdhsa_float_round_mode_32 0
		.amdhsa_float_round_mode_16_64 0
		.amdhsa_float_denorm_mode_32 3
		.amdhsa_float_denorm_mode_16_64 3
		.amdhsa_dx10_clamp 1
		.amdhsa_ieee_mode 1
		.amdhsa_fp16_overflow 0
		.amdhsa_workgroup_processor_mode 1
		.amdhsa_memory_ordered 1
		.amdhsa_forward_progress 0
		.amdhsa_shared_vgpr_count 0
		.amdhsa_exception_fp_ieee_invalid_op 0
		.amdhsa_exception_fp_denorm_src 0
		.amdhsa_exception_fp_ieee_div_zero 0
		.amdhsa_exception_fp_ieee_overflow 0
		.amdhsa_exception_fp_ieee_underflow 0
		.amdhsa_exception_fp_ieee_inexact 0
		.amdhsa_exception_int_div_zero 0
	.end_amdhsa_kernel
	.text
.Lfunc_end0:
	.size	bluestein_single_fwd_len960_dim1_sp_op_CI_CI, .Lfunc_end0-bluestein_single_fwd_len960_dim1_sp_op_CI_CI
                                        ; -- End function
	.section	.AMDGPU.csdata,"",@progbits
; Kernel info:
; codeLenInByte = 9904
; NumSgprs: 18
; NumVgprs: 116
; ScratchSize: 0
; MemoryBound: 0
; FloatMode: 240
; IeeeMode: 1
; LDSByteSize: 7680 bytes/workgroup (compile time only)
; SGPRBlocks: 2
; VGPRBlocks: 14
; NumSGPRsForWavesPerEU: 18
; NumVGPRsForWavesPerEU: 116
; Occupancy: 8
; WaveLimiterHint : 1
; COMPUTE_PGM_RSRC2:SCRATCH_EN: 0
; COMPUTE_PGM_RSRC2:USER_SGPR: 6
; COMPUTE_PGM_RSRC2:TRAP_HANDLER: 0
; COMPUTE_PGM_RSRC2:TGID_X_EN: 1
; COMPUTE_PGM_RSRC2:TGID_Y_EN: 0
; COMPUTE_PGM_RSRC2:TGID_Z_EN: 0
; COMPUTE_PGM_RSRC2:TIDIG_COMP_CNT: 0
	.text
	.p2alignl 6, 3214868480
	.fill 48, 4, 3214868480
	.type	__hip_cuid_7cacdfde6f19d19,@object ; @__hip_cuid_7cacdfde6f19d19
	.section	.bss,"aw",@nobits
	.globl	__hip_cuid_7cacdfde6f19d19
__hip_cuid_7cacdfde6f19d19:
	.byte	0                               ; 0x0
	.size	__hip_cuid_7cacdfde6f19d19, 1

	.ident	"AMD clang version 19.0.0git (https://github.com/RadeonOpenCompute/llvm-project roc-6.4.0 25133 c7fe45cf4b819c5991fe208aaa96edf142730f1d)"
	.section	".note.GNU-stack","",@progbits
	.addrsig
	.addrsig_sym __hip_cuid_7cacdfde6f19d19
	.amdgpu_metadata
---
amdhsa.kernels:
  - .args:
      - .actual_access:  read_only
        .address_space:  global
        .offset:         0
        .size:           8
        .value_kind:     global_buffer
      - .actual_access:  read_only
        .address_space:  global
        .offset:         8
        .size:           8
        .value_kind:     global_buffer
      - .actual_access:  read_only
        .address_space:  global
        .offset:         16
        .size:           8
        .value_kind:     global_buffer
      - .actual_access:  read_only
        .address_space:  global
        .offset:         24
        .size:           8
        .value_kind:     global_buffer
      - .actual_access:  read_only
        .address_space:  global
        .offset:         32
        .size:           8
        .value_kind:     global_buffer
      - .offset:         40
        .size:           8
        .value_kind:     by_value
      - .address_space:  global
        .offset:         48
        .size:           8
        .value_kind:     global_buffer
      - .address_space:  global
        .offset:         56
        .size:           8
        .value_kind:     global_buffer
      - .address_space:  global
        .offset:         64
        .size:           8
        .value_kind:     global_buffer
      - .address_space:  global
        .offset:         72
        .size:           8
        .value_kind:     global_buffer
      - .offset:         80
        .size:           4
        .value_kind:     by_value
      - .address_space:  global
        .offset:         88
        .size:           8
        .value_kind:     global_buffer
      - .address_space:  global
        .offset:         96
        .size:           8
        .value_kind:     global_buffer
    .group_segment_fixed_size: 7680
    .kernarg_segment_align: 8
    .kernarg_segment_size: 104
    .language:       OpenCL C
    .language_version:
      - 2
      - 0
    .max_flat_workgroup_size: 160
    .name:           bluestein_single_fwd_len960_dim1_sp_op_CI_CI
    .private_segment_fixed_size: 0
    .sgpr_count:     18
    .sgpr_spill_count: 0
    .symbol:         bluestein_single_fwd_len960_dim1_sp_op_CI_CI.kd
    .uniform_work_group_size: 1
    .uses_dynamic_stack: false
    .vgpr_count:     116
    .vgpr_spill_count: 0
    .wavefront_size: 32
    .workgroup_processor_mode: 1
amdhsa.target:   amdgcn-amd-amdhsa--gfx1030
amdhsa.version:
  - 1
  - 2
...

	.end_amdgpu_metadata
